;; amdgpu-corpus repo=zjin-lcf/HeCBench kind=compiled arch=gfx1250 opt=O3
	.amdgcn_target "amdgcn-amd-amdhsa--gfx1250"
	.amdhsa_code_object_version 6
	.text
	.protected	_Z11firstColGPUPji      ; -- Begin function _Z11firstColGPUPji
	.globl	_Z11firstColGPUPji
	.p2align	8
	.type	_Z11firstColGPUPji,@function
_Z11firstColGPUPji:                     ; @_Z11firstColGPUPji
; %bb.0:
	s_load_b96 s[0:2], s[0:1], 0x0
	v_lshlrev_b32_e32 v2, 2, v0
	s_wait_kmcnt 0x0
	global_load_b32 v1, v0, s[0:1] scale_offset
	s_cmp_lt_i32 s2, 0x200
	s_wait_loadcnt 0x0
	ds_store_b32 v2, v1
	s_wait_dscnt 0x0
	s_barrier_signal -1
	s_barrier_wait -1
	s_cbranch_scc1 .LBB0_19
; %bb.1:
	v_mov_b32_e32 v3, 0
	v_cmp_gt_u32_e32 vcc_lo, 32, v0
	s_delay_alu instid0(VALU_DEP_2) | instskip(SKIP_2) | instid1(SALU_CYCLE_1)
	v_add_nc_u64_e32 v[4:5], s[0:1], v[2:3]
	v_add_nc_u32_e32 v3, 36, v2
	s_lshr_b32 s0, s2, 8
	s_add_co_i32 s0, s0, -1
	s_delay_alu instid0(VALU_DEP_2)
	v_add_nc_u64_e32 v[0:1], 0x400, v[4:5]
	v_add_nc_u32_e32 v4, 0xa4, v2
	v_add_nc_u32_e32 v5, 0x200, v2
	s_branch .LBB0_3
.LBB0_2:                                ;   in Loop: Header=BB0_3 Depth=1
	s_or_b32 exec_lo, exec_lo, s1
	s_wait_dscnt 0x0
	s_barrier_signal -1
	s_barrier_wait -1
	ds_load_b32 v6, v2 offset:1024
	s_add_co_i32 s0, s0, -1
	s_delay_alu instid0(SALU_CYCLE_1)
	s_cmp_eq_u32 s0, 0
	s_wait_dscnt 0x0
	global_store_b32 v[0:1], v6, off
	s_wait_xcnt 0x0
	v_add_nc_u64_e32 v[0:1], 0x400, v[0:1]
	ds_store_b32 v2, v6
	s_wait_storecnt_dscnt 0x0
	s_barrier_signal -1
	s_barrier_wait -1
	s_cbranch_scc1 .LBB0_19
.LBB0_3:                                ; =>This Inner Loop Header: Depth=1
	s_and_saveexec_b32 s1, vcc_lo
	s_cbranch_execz .LBB0_5
; %bb.4:                                ;   in Loop: Header=BB0_3 Depth=1
	ds_load_2addr_b32 v[6:7], v2 offset0:137 offset1:201
	ds_load_2addr_b32 v[8:9], v2 offset1:77
	s_wait_dscnt 0x1
	v_add_nc_u32_e32 v6, v6, v7
	s_wait_dscnt 0x0
	s_delay_alu instid0(VALU_DEP_1)
	v_add3_u32 v6, v6, v9, v8
	ds_store_b32 v2, v6 offset:1024
.LBB0_5:                                ;   in Loop: Header=BB0_3 Depth=1
	s_or_b32 exec_lo, exec_lo, s1
	s_wait_dscnt 0x0
	s_barrier_signal -1
	s_barrier_wait -1
	s_and_saveexec_b32 s1, vcc_lo
	s_cbranch_execz .LBB0_7
; %bb.6:                                ;   in Loop: Header=BB0_3 Depth=1
	ds_load_2addr_b32 v[6:7], v2 offset0:169 offset1:233
	ds_load_2addr_b32 v[8:9], v2 offset0:32 offset1:109
	s_wait_dscnt 0x1
	v_add_nc_u32_e32 v6, v6, v7
	s_wait_dscnt 0x0
	s_delay_alu instid0(VALU_DEP_1)
	v_add3_u32 v6, v6, v9, v8
	ds_store_b32 v2, v6 offset:1152
.LBB0_7:                                ;   in Loop: Header=BB0_3 Depth=1
	s_or_b32 exec_lo, exec_lo, s1
	s_wait_dscnt 0x0
	s_barrier_signal -1
	s_barrier_wait -1
	s_and_saveexec_b32 s1, vcc_lo
	s_cbranch_execz .LBB0_9
; %bb.8:                                ;   in Loop: Header=BB0_3 Depth=1
	ds_load_2addr_stride64_b32 v[6:7], v3 offset0:3 offset1:4
	ds_load_2addr_b32 v[8:9], v2 offset0:64 offset1:141
	s_wait_dscnt 0x1
	v_add_nc_u32_e32 v6, v6, v7
	s_wait_dscnt 0x0
	s_delay_alu instid0(VALU_DEP_1)
	v_add3_u32 v6, v6, v9, v8
	ds_store_b32 v2, v6 offset:1280
.LBB0_9:                                ;   in Loop: Header=BB0_3 Depth=1
	s_or_b32 exec_lo, exec_lo, s1
	s_wait_dscnt 0x0
	s_barrier_signal -1
	s_barrier_wait -1
	s_and_saveexec_b32 s1, vcc_lo
	s_cbranch_execz .LBB0_11
; %bb.10:                               ;   in Loop: Header=BB0_3 Depth=1
	ds_load_2addr_stride64_b32 v[6:7], v4 offset0:3 offset1:4
	ds_load_2addr_b32 v[8:9], v2 offset0:96 offset1:173
	s_wait_dscnt 0x1
	v_add_nc_u32_e32 v6, v6, v7
	s_wait_dscnt 0x0
	s_delay_alu instid0(VALU_DEP_1)
	v_add3_u32 v6, v6, v9, v8
	ds_store_b32 v2, v6 offset:1408
.LBB0_11:                               ;   in Loop: Header=BB0_3 Depth=1
	s_or_b32 exec_lo, exec_lo, s1
	s_wait_dscnt 0x0
	s_barrier_signal -1
	s_barrier_wait -1
	s_and_saveexec_b32 s1, vcc_lo
	s_cbranch_execz .LBB0_13
; %bb.12:                               ;   in Loop: Header=BB0_3 Depth=1
	ds_load_2addr_stride64_b32 v[6:7], v3 offset0:4 offset1:5
	ds_load_2addr_b32 v[8:9], v2 offset0:128 offset1:205
	s_wait_dscnt 0x1
	v_add_nc_u32_e32 v6, v6, v7
	s_wait_dscnt 0x0
	s_delay_alu instid0(VALU_DEP_1)
	v_add3_u32 v6, v6, v9, v8
	ds_store_b32 v2, v6 offset:1536
.LBB0_13:                               ;   in Loop: Header=BB0_3 Depth=1
	;; [unrolled: 16-line block ×4, first 2 shown]
	s_or_b32 exec_lo, exec_lo, s1
	s_wait_dscnt 0x0
	s_barrier_signal -1
	s_barrier_wait -1
	s_and_saveexec_b32 s1, vcc_lo
	s_cbranch_execz .LBB0_2
; %bb.18:                               ;   in Loop: Header=BB0_3 Depth=1
	ds_load_2addr_stride64_b32 v[6:7], v4 offset0:5 offset1:6
	ds_load_2addr_b32 v[8:9], v5 offset0:96 offset1:173
	s_wait_dscnt 0x1
	v_add_nc_u32_e32 v6, v6, v7
	s_wait_dscnt 0x0
	s_delay_alu instid0(VALU_DEP_1)
	v_add3_u32 v6, v6, v9, v8
	ds_store_b32 v2, v6 offset:1920
	s_branch .LBB0_2
.LBB0_19:
	s_endpgm
	.section	.rodata,"a",@progbits
	.p2align	6, 0x0
	.amdhsa_kernel _Z11firstColGPUPji
		.amdhsa_group_segment_fixed_size 2048
		.amdhsa_private_segment_fixed_size 0
		.amdhsa_kernarg_size 12
		.amdhsa_user_sgpr_count 2
		.amdhsa_user_sgpr_dispatch_ptr 0
		.amdhsa_user_sgpr_queue_ptr 0
		.amdhsa_user_sgpr_kernarg_segment_ptr 1
		.amdhsa_user_sgpr_dispatch_id 0
		.amdhsa_user_sgpr_kernarg_preload_length 0
		.amdhsa_user_sgpr_kernarg_preload_offset 0
		.amdhsa_user_sgpr_private_segment_size 0
		.amdhsa_wavefront_size32 1
		.amdhsa_uses_dynamic_stack 0
		.amdhsa_enable_private_segment 0
		.amdhsa_system_sgpr_workgroup_id_x 1
		.amdhsa_system_sgpr_workgroup_id_y 0
		.amdhsa_system_sgpr_workgroup_id_z 0
		.amdhsa_system_sgpr_workgroup_info 0
		.amdhsa_system_vgpr_workitem_id 0
		.amdhsa_next_free_vgpr 10
		.amdhsa_next_free_sgpr 3
		.amdhsa_named_barrier_count 0
		.amdhsa_reserve_vcc 1
		.amdhsa_float_round_mode_32 0
		.amdhsa_float_round_mode_16_64 0
		.amdhsa_float_denorm_mode_32 3
		.amdhsa_float_denorm_mode_16_64 3
		.amdhsa_fp16_overflow 0
		.amdhsa_memory_ordered 1
		.amdhsa_forward_progress 1
		.amdhsa_inst_pref_size 7
		.amdhsa_round_robin_scheduling 0
		.amdhsa_exception_fp_ieee_invalid_op 0
		.amdhsa_exception_fp_denorm_src 0
		.amdhsa_exception_fp_ieee_div_zero 0
		.amdhsa_exception_fp_ieee_overflow 0
		.amdhsa_exception_fp_ieee_underflow 0
		.amdhsa_exception_fp_ieee_inexact 0
		.amdhsa_exception_int_div_zero 0
	.end_amdhsa_kernel
	.text
.Lfunc_end0:
	.size	_Z11firstColGPUPji, .Lfunc_end0-_Z11firstColGPUPji
                                        ; -- End function
	.set _Z11firstColGPUPji.num_vgpr, 10
	.set _Z11firstColGPUPji.num_agpr, 0
	.set _Z11firstColGPUPji.numbered_sgpr, 3
	.set _Z11firstColGPUPji.num_named_barrier, 0
	.set _Z11firstColGPUPji.private_seg_size, 0
	.set _Z11firstColGPUPji.uses_vcc, 1
	.set _Z11firstColGPUPji.uses_flat_scratch, 0
	.set _Z11firstColGPUPji.has_dyn_sized_stack, 0
	.set _Z11firstColGPUPji.has_recursion, 0
	.set _Z11firstColGPUPji.has_indirect_call, 0
	.section	.AMDGPU.csdata,"",@progbits
; Kernel info:
; codeLenInByte = 780
; TotalNumSgprs: 5
; NumVgprs: 10
; ScratchSize: 0
; MemoryBound: 0
; FloatMode: 240
; IeeeMode: 1
; LDSByteSize: 2048 bytes/workgroup (compile time only)
; SGPRBlocks: 0
; VGPRBlocks: 0
; NumSGPRsForWavesPerEU: 5
; NumVGPRsForWavesPerEU: 10
; NamedBarCnt: 0
; Occupancy: 16
; WaveLimiterHint : 0
; COMPUTE_PGM_RSRC2:SCRATCH_EN: 0
; COMPUTE_PGM_RSRC2:USER_SGPR: 2
; COMPUTE_PGM_RSRC2:TRAP_HANDLER: 0
; COMPUTE_PGM_RSRC2:TGID_X_EN: 1
; COMPUTE_PGM_RSRC2:TGID_Y_EN: 0
; COMPUTE_PGM_RSRC2:TGID_Z_EN: 0
; COMPUTE_PGM_RSRC2:TIDIG_COMP_CNT: 0
	.text
	.protected	_Z7colYGPUPji           ; -- Begin function _Z7colYGPUPji
	.globl	_Z7colYGPUPji
	.p2align	8
	.type	_Z7colYGPUPji,@function
_Z7colYGPUPji:                          ; @_Z7colYGPUPji
; %bb.0:
	s_load_b96 s[0:2], s[0:1], 0x0
	v_dual_mov_b32 v5, 0 :: v_dual_lshlrev_b32 v4, 2, v0
	s_wait_kmcnt 0x0
	global_load_b32 v1, v0, s[0:1] offset:2048 scale_offset
	v_add_nc_u64_e32 v[2:3], s[0:1], v[4:5]
	s_cmp_lt_i32 s2, 0x100
	s_wait_loadcnt 0x0
	ds_store_b32 v4, v1 offset:2048
	s_wait_dscnt 0x0
	s_barrier_signal -1
	s_barrier_wait -1
	s_cbranch_scc1 .LBB1_19
; %bb.1:
	s_ashr_i32 s0, s2, 31
	v_cmp_gt_u32_e32 vcc_lo, 32, v0
	s_lshr_b32 s0, s0, 24
	v_add_nc_u32_e32 v0, 36, v4
	v_add_nc_u32_e32 v1, 0x400, v4
	;; [unrolled: 1-line block ×4, first 2 shown]
	s_add_co_i32 s0, s2, s0
	s_delay_alu instid0(SALU_CYCLE_1)
	s_ashr_i32 s0, s0, 8
	s_branch .LBB1_3
.LBB1_2:                                ;   in Loop: Header=BB1_3 Depth=1
	s_or_b32 exec_lo, exec_lo, s1
	s_add_co_i32 s0, s0, -1
	s_wait_dscnt 0x0
	s_cmp_eq_u32 s0, 0
	s_barrier_signal -1
	s_barrier_wait -1
	s_cbranch_scc1 .LBB1_19
.LBB1_3:                                ; =>This Inner Loop Header: Depth=1
	ds_load_2addr_stride64_b32 v[8:9], v4 offset0:4 offset1:8
	s_wait_dscnt 0x0
	ds_store_2addr_stride64_b32 v4, v8, v9 offset1:4
	s_wait_dscnt 0x0
	s_barrier_signal -1
	s_barrier_wait -1
	s_and_saveexec_b32 s1, vcc_lo
	s_cbranch_execz .LBB1_5
; %bb.4:                                ;   in Loop: Header=BB1_3 Depth=1
	ds_load_2addr_stride64_b32 v[8:9], v0 offset0:6 offset1:7
	ds_load_2addr_b32 v[10:11], v1 offset1:77
	s_wait_dscnt 0x1
	v_add_nc_u32_e32 v7, v8, v9
	s_wait_dscnt 0x0
	s_delay_alu instid0(VALU_DEP_1)
	v_add3_u32 v7, v7, v11, v10
	ds_store_b32 v4, v7 offset:2048
.LBB1_5:                                ;   in Loop: Header=BB1_3 Depth=1
	s_or_b32 exec_lo, exec_lo, s1
	s_wait_dscnt 0x0
	s_barrier_signal -1
	s_barrier_wait -1
	s_and_saveexec_b32 s1, vcc_lo
	s_cbranch_execz .LBB1_7
; %bb.6:                                ;   in Loop: Header=BB1_3 Depth=1
	ds_load_2addr_stride64_b32 v[8:9], v5 offset0:6 offset1:7
	ds_load_2addr_b32 v[10:11], v1 offset0:32 offset1:109
	s_wait_dscnt 0x1
	v_add_nc_u32_e32 v7, v8, v9
	s_wait_dscnt 0x0
	s_delay_alu instid0(VALU_DEP_1)
	v_add3_u32 v7, v7, v11, v10
	ds_store_b32 v4, v7 offset:2176
.LBB1_7:                                ;   in Loop: Header=BB1_3 Depth=1
	s_or_b32 exec_lo, exec_lo, s1
	s_wait_dscnt 0x0
	s_barrier_signal -1
	s_barrier_wait -1
	s_and_saveexec_b32 s1, vcc_lo
	s_cbranch_execz .LBB1_9
; %bb.8:                                ;   in Loop: Header=BB1_3 Depth=1
	ds_load_2addr_stride64_b32 v[8:9], v0 offset0:7 offset1:8
	ds_load_2addr_b32 v[10:11], v1 offset0:64 offset1:141
	s_wait_dscnt 0x1
	v_add_nc_u32_e32 v7, v8, v9
	s_wait_dscnt 0x0
	s_delay_alu instid0(VALU_DEP_1)
	v_add3_u32 v7, v7, v11, v10
	ds_store_b32 v4, v7 offset:2304
.LBB1_9:                                ;   in Loop: Header=BB1_3 Depth=1
	s_or_b32 exec_lo, exec_lo, s1
	s_wait_dscnt 0x0
	s_barrier_signal -1
	s_barrier_wait -1
	s_and_saveexec_b32 s1, vcc_lo
	s_cbranch_execz .LBB1_11
; %bb.10:                               ;   in Loop: Header=BB1_3 Depth=1
	ds_load_2addr_stride64_b32 v[8:9], v5 offset0:7 offset1:8
	ds_load_2addr_b32 v[10:11], v1 offset0:96 offset1:173
	s_wait_dscnt 0x1
	v_add_nc_u32_e32 v7, v8, v9
	s_wait_dscnt 0x0
	s_delay_alu instid0(VALU_DEP_1)
	v_add3_u32 v7, v7, v11, v10
	ds_store_b32 v4, v7 offset:2432
.LBB1_11:                               ;   in Loop: Header=BB1_3 Depth=1
	s_or_b32 exec_lo, exec_lo, s1
	s_wait_dscnt 0x0
	s_barrier_signal -1
	s_barrier_wait -1
	s_and_saveexec_b32 s1, vcc_lo
	s_cbranch_execz .LBB1_13
; %bb.12:                               ;   in Loop: Header=BB1_3 Depth=1
	ds_load_2addr_stride64_b32 v[8:9], v0 offset0:8 offset1:9
	ds_load_2addr_b32 v[10:11], v1 offset0:128 offset1:205
	s_wait_dscnt 0x1
	v_add_nc_u32_e32 v7, v8, v9
	s_wait_dscnt 0x0
	s_delay_alu instid0(VALU_DEP_1)
	v_add3_u32 v7, v7, v11, v10
	ds_store_b32 v4, v7 offset:2560
.LBB1_13:                               ;   in Loop: Header=BB1_3 Depth=1
	;; [unrolled: 16-line block ×4, first 2 shown]
	s_or_b32 exec_lo, exec_lo, s1
	s_wait_dscnt 0x0
	s_barrier_signal -1
	s_barrier_wait -1
	s_and_saveexec_b32 s1, vcc_lo
	s_cbranch_execz .LBB1_2
; %bb.18:                               ;   in Loop: Header=BB1_3 Depth=1
	ds_load_2addr_stride64_b32 v[8:9], v5 offset0:9 offset1:10
	ds_load_2addr_b32 v[10:11], v6 offset0:96 offset1:173
	s_wait_dscnt 0x1
	v_add_nc_u32_e32 v7, v8, v9
	s_wait_dscnt 0x0
	s_delay_alu instid0(VALU_DEP_1)
	v_add3_u32 v7, v7, v11, v10
	ds_store_b32 v4, v7 offset:2944
	s_branch .LBB1_2
.LBB1_19:
	ds_load_b32 v5, v4 offset:2048
	ds_load_2addr_stride64_b32 v[0:1], v4 offset1:4
	s_wait_dscnt 0x1
	global_store_b32 v[2:3], v5, off offset:2048
	s_wait_dscnt 0x0
	s_clause 0x1
	global_store_b32 v[2:3], v1, off offset:1024
	global_store_b32 v[2:3], v0, off
	s_endpgm
	.section	.rodata,"a",@progbits
	.p2align	6, 0x0
	.amdhsa_kernel _Z7colYGPUPji
		.amdhsa_group_segment_fixed_size 3072
		.amdhsa_private_segment_fixed_size 0
		.amdhsa_kernarg_size 12
		.amdhsa_user_sgpr_count 2
		.amdhsa_user_sgpr_dispatch_ptr 0
		.amdhsa_user_sgpr_queue_ptr 0
		.amdhsa_user_sgpr_kernarg_segment_ptr 1
		.amdhsa_user_sgpr_dispatch_id 0
		.amdhsa_user_sgpr_kernarg_preload_length 0
		.amdhsa_user_sgpr_kernarg_preload_offset 0
		.amdhsa_user_sgpr_private_segment_size 0
		.amdhsa_wavefront_size32 1
		.amdhsa_uses_dynamic_stack 0
		.amdhsa_enable_private_segment 0
		.amdhsa_system_sgpr_workgroup_id_x 1
		.amdhsa_system_sgpr_workgroup_id_y 0
		.amdhsa_system_sgpr_workgroup_id_z 0
		.amdhsa_system_sgpr_workgroup_info 0
		.amdhsa_system_vgpr_workitem_id 0
		.amdhsa_next_free_vgpr 12
		.amdhsa_next_free_sgpr 3
		.amdhsa_named_barrier_count 0
		.amdhsa_reserve_vcc 1
		.amdhsa_float_round_mode_32 0
		.amdhsa_float_round_mode_16_64 0
		.amdhsa_float_denorm_mode_32 3
		.amdhsa_float_denorm_mode_16_64 3
		.amdhsa_fp16_overflow 0
		.amdhsa_memory_ordered 1
		.amdhsa_forward_progress 1
		.amdhsa_inst_pref_size 7
		.amdhsa_round_robin_scheduling 0
		.amdhsa_exception_fp_ieee_invalid_op 0
		.amdhsa_exception_fp_denorm_src 0
		.amdhsa_exception_fp_ieee_div_zero 0
		.amdhsa_exception_fp_ieee_overflow 0
		.amdhsa_exception_fp_ieee_underflow 0
		.amdhsa_exception_fp_ieee_inexact 0
		.amdhsa_exception_int_div_zero 0
	.end_amdhsa_kernel
	.text
.Lfunc_end1:
	.size	_Z7colYGPUPji, .Lfunc_end1-_Z7colYGPUPji
                                        ; -- End function
	.set _Z7colYGPUPji.num_vgpr, 12
	.set _Z7colYGPUPji.num_agpr, 0
	.set _Z7colYGPUPji.numbered_sgpr, 3
	.set _Z7colYGPUPji.num_named_barrier, 0
	.set _Z7colYGPUPji.private_seg_size, 0
	.set _Z7colYGPUPji.uses_vcc, 1
	.set _Z7colYGPUPji.uses_flat_scratch, 0
	.set _Z7colYGPUPji.has_dyn_sized_stack, 0
	.set _Z7colYGPUPji.has_recursion, 0
	.set _Z7colYGPUPji.has_indirect_call, 0
	.section	.AMDGPU.csdata,"",@progbits
; Kernel info:
; codeLenInByte = 820
; TotalNumSgprs: 5
; NumVgprs: 12
; ScratchSize: 0
; MemoryBound: 0
; FloatMode: 240
; IeeeMode: 1
; LDSByteSize: 3072 bytes/workgroup (compile time only)
; SGPRBlocks: 0
; VGPRBlocks: 0
; NumSGPRsForWavesPerEU: 5
; NumVGPRsForWavesPerEU: 12
; NamedBarCnt: 0
; Occupancy: 16
; WaveLimiterHint : 1
; COMPUTE_PGM_RSRC2:SCRATCH_EN: 0
; COMPUTE_PGM_RSRC2:USER_SGPR: 2
; COMPUTE_PGM_RSRC2:TRAP_HANDLER: 0
; COMPUTE_PGM_RSRC2:TGID_X_EN: 1
; COMPUTE_PGM_RSRC2:TGID_Y_EN: 0
; COMPUTE_PGM_RSRC2:TGID_Z_EN: 0
; COMPUTE_PGM_RSRC2:TIDIG_COMP_CNT: 0
	.text
	.protected	_Z10lastEntGPUPjS_ii    ; -- Begin function _Z10lastEntGPUPjS_ii
	.globl	_Z10lastEntGPUPjS_ii
	.p2align	8
	.type	_Z10lastEntGPUPjS_ii,@function
_Z10lastEntGPUPjS_ii:                   ; @_Z10lastEntGPUPjS_ii
; %bb.0:
	s_load_b64 s[2:3], s[0:1], 0x8
	v_lshlrev_b32_e32 v2, 2, v0
	v_cmp_gt_u32_e32 vcc_lo, 0x100, v0
	s_wait_kmcnt 0x0
	global_load_b32 v1, v0, s[2:3] scale_offset
	s_wait_loadcnt 0x0
	ds_store_b32 v2, v1
	s_wait_dscnt 0x0
	s_barrier_signal -1
	s_barrier_wait -1
	s_and_saveexec_b32 s4, vcc_lo
	s_cbranch_execz .LBB2_2
; %bb.1:
	v_mov_b32_e32 v3, 0
	s_delay_alu instid0(VALU_DEP_1)
	v_add_nc_u64_e32 v[4:5], s[2:3], v[2:3]
	global_load_b32 v1, v[4:5], off offset:2048
	s_wait_loadcnt 0x0
	ds_store_b32 v2, v1 offset:2048
.LBB2_2:
	s_or_b32 exec_lo, exec_lo, s4
	s_wait_dscnt 0x0
	s_barrier_signal -1
	s_barrier_wait -1
	ds_load_b32 v1, v2 offset:1024
	s_load_b64 s[2:3], s[0:1], 0x10
	s_wait_dscnt 0x0
	ds_store_2addr_stride64_b32 v2, v1, v1 offset0:12 offset1:20
	ds_store_b32 v2, v1 offset:7168
	s_wait_dscnt 0x0
	s_barrier_signal -1
	s_barrier_wait -1
	ds_load_b32 v1, v2 offset:716
	ds_load_b32 v3, v2 offset:3072
	s_wait_kmcnt 0x0
	s_cmp_lt_i32 s3, 2
	s_wait_dscnt 0x0
	v_add_nc_u32_e32 v1, v3, v1
	ds_store_b32 v2, v1 offset:3072
	s_wait_dscnt 0x0
	s_barrier_signal -1
	s_barrier_wait -1
	ds_load_2addr_b32 v[4:5], v2 offset0:119 offset1:196
	ds_load_b32 v1, v2 offset:5120
	s_wait_dscnt 0x0
	v_add3_u32 v1, v4, v5, v1
	ds_store_b32 v2, v1 offset:5120
	s_wait_dscnt 0x0
	s_barrier_signal -1
	s_barrier_wait -1
	ds_load_2addr_stride64_b32 v[4:5], v2 offset0:3 offset1:28
	ds_load_2addr_b32 v[6:7], v2 offset0:55 offset1:132
	s_wait_dscnt 0x0
	v_add_nc_u32_e32 v1, v7, v4
	s_delay_alu instid0(VALU_DEP_1)
	v_add3_u32 v1, v1, v6, v5
	ds_store_b32 v2, v1 offset:7168
	s_wait_dscnt 0x0
	s_barrier_signal -1
	s_barrier_wait -1
	s_cbranch_scc1 .LBB2_11
; %bb.3:
	s_load_b64 s[0:1], s[0:1], 0x0
	v_add_nc_u32_e32 v3, 0xc00, v2
	v_add3_u32 v0, v0, s2, 0xffffff00
	v_dual_mov_b32 v7, 0 :: v_dual_add_nc_u32 v4, 0x1c00, v2
	v_add_nc_u32_e32 v5, 0x7f4, v2
	v_add_nc_u32_e32 v6, 0x17c4, v2
	s_delay_alu instid0(VALU_DEP_4)
	v_ashrrev_i32_e32 v1, 31, v0
	v_add_nc_u32_e32 v8, 0x3fc, v3
	s_mov_b64 s[4:5], 0xfffffffffffffc00
	s_mov_b64 s[6:7], 0xfffffffffffffe24
	s_mov_b32 s14, 1
	s_mov_b32 s8, s2
	s_wait_kmcnt 0x0
	s_add_nc_u64 s[4:5], s[0:1], s[4:5]
	s_add_nc_u64 s[6:7], s[0:1], s[6:7]
	s_branch .LBB2_5
.LBB2_4:                                ;   in Loop: Header=BB2_5 Depth=1
	s_wait_xcnt 0x0
	s_or_b32 exec_lo, exec_lo, s15
	s_add_co_i32 s14, s14, 1
	s_add_co_i32 s8, s8, s2
	s_cmp_eq_u32 s14, s3
	s_wait_storecnt 0x0
	s_barrier_signal -1
	s_barrier_wait -1
	s_cbranch_scc1 .LBB2_11
.LBB2_5:                                ; =>This Loop Header: Depth=1
                                        ;     Child Loop BB2_7 Depth 2
                                        ;     Child Loop BB2_9 Depth 2
	s_and_saveexec_b32 s15, vcc_lo
	s_cbranch_execz .LBB2_4
; %bb.6:                                ;   in Loop: Header=BB2_5 Depth=1
	s_ashr_i32 s9, s8, 31
	v_dual_mov_b32 v9, 0 :: v_dual_mov_b32 v10, 0
	s_lshl_b64 s[12:13], s[8:9], 2
	s_mov_b32 s9, 0
	s_add_nc_u64 s[10:11], s[4:5], s[12:13]
.LBB2_7:                                ;   Parent Loop BB2_5 Depth=1
                                        ; =>  This Inner Loop Header: Depth=2
	global_load_b128 v[12:15], v7, s[10:11]
	v_add_nc_u32_e32 v11, s9, v5
	s_add_co_i32 s9, s9, -16
	s_wait_xcnt 0x0
	s_add_nc_u64 s[10:11], s[10:11], 16
	s_cmp_lg_u32 s9, 0xfffffed0
	ds_load_2addr_b32 v[16:17], v11 offset0:2 offset1:3
	ds_load_2addr_b32 v[18:19], v11 offset1:1
	s_wait_loadcnt_dscnt 0x1
	v_mad_u32 v10, v16, v13, v10
	v_mad_u32 v9, v17, v12, v9
	s_wait_dscnt 0x0
	s_delay_alu instid0(VALU_DEP_2) | instskip(NEXT) | instid1(VALU_DEP_2)
	v_mad_u32 v10, v18, v15, v10
	v_mad_u32 v9, v19, v14, v9
	s_cbranch_scc1 .LBB2_7
; %bb.8:                                ;   in Loop: Header=BB2_5 Depth=1
	s_mul_i32 s16, s14, s2
	s_add_nc_u64 s[12:13], s[6:7], s[12:13]
	s_ashr_i32 s17, s16, 31
	s_delay_alu instid0(VALU_DEP_1)
	v_dual_mov_b32 v11, s16 :: v_dual_add_nc_u32 v9, v9, v10
	s_lshl_b64 s[10:11], s[16:17], 2
	s_mov_b32 s9, 0
	s_add_nc_u64 s[10:11], s[0:1], s[10:11]
	s_clause 0xb
	global_load_b128 v[12:15], v7, s[10:11] offset:-720
	global_load_b128 v[16:19], v7, s[10:11] offset:-704
	;; [unrolled: 1-line block ×3, first 2 shown]
	global_load_b64 v[56:57], v7, s[10:11] offset:-672
	global_load_b32 v64, v11, s[0:1] offset:-664 scale_offset
	global_load_b128 v[24:27], v7, s[10:11] offset:-660
	global_load_b128 v[28:31], v7, s[10:11] offset:-644
	;; [unrolled: 1-line block ×7, first 2 shown]
	s_wait_xcnt 0x7
	ds_load_b32 v11, v2 offset:1744
	ds_load_2addr_b32 v[58:59], v8 offset1:1
	global_load_b128 v[52:55], v7, s[10:11] offset:-548
	ds_load_2addr_b32 v[60:61], v3 offset0:253 offset1:254
	ds_load_2addr_b32 v[62:63], v3 offset0:251 offset1:252
	s_wait_loadcnt_dscnt 0xc03
	v_mad_u32 v9, v11, v12, v9
	s_wait_dscnt 0x2
	v_mul_lo_u32 v14, v58, v14
	s_delay_alu instid0(VALU_DEP_2)
	v_mad_u32 v9, v59, v13, v9
	global_load_b128 v[10:13], v7, s[10:11] offset:-532
	s_wait_loadcnt_dscnt 0xc01
	v_mad_u32 v14, v60, v16, v14
	ds_load_2addr_b32 v[58:59], v3 offset0:249 offset1:250
	v_mad_u32 v9, v61, v15, v9
	ds_load_2addr_b32 v[60:61], v3 offset0:247 offset1:248
	s_wait_dscnt 0x2
	v_mad_u32 v18, v62, v18, v14
	v_mad_u32 v9, v63, v17, v9
	global_load_b128 v[14:17], v7, s[10:11] offset:-516
	s_wait_loadcnt_dscnt 0xc01
	v_mad_u32 v18, v58, v20, v18
	v_mad_u32 v9, v59, v19, v9
	ds_load_2addr_b32 v[58:59], v3 offset0:245 offset1:246
	s_wait_dscnt 0x1
	v_mad_u32 v62, v60, v22, v18
	v_mad_u32 v9, v61, v21, v9
	global_load_b128 v[18:21], v7, s[10:11] offset:-500
	ds_load_2addr_b32 v[60:61], v3 offset0:243 offset1:244
	s_wait_loadcnt_dscnt 0xc01
	v_mad_u32 v56, v58, v56, v62
	v_mad_u32 v9, v59, v23, v9
	global_load_b64 v[22:23], v7, s[10:11] offset:-484
	ds_load_2addr_b32 v[58:59], v3 offset0:241 offset1:242
	s_wait_loadcnt_dscnt 0xc01
	v_mad_u32 v60, v60, v64, v56
	v_mad_u32 v9, v61, v57, v9
	ds_load_2addr_b32 v[56:57], v3 offset0:239 offset1:240
	s_wait_loadcnt_dscnt 0xb01
	v_mad_u32 v25, v58, v25, v60
	ds_load_2addr_b32 v[60:61], v3 offset0:237 offset1:238
	v_mad_u32 v9, v59, v24, v9
	s_wait_dscnt 0x1
	v_mad_u32 v27, v56, v27, v25
	ds_load_2addr_b32 v[24:25], v3 offset0:235 offset1:236
	v_mad_u32 v9, v57, v26, v9
	s_wait_loadcnt_dscnt 0xa01
	v_mad_u32 v29, v60, v29, v27
	ds_load_2addr_b32 v[26:27], v3 offset0:233 offset1:234
	v_mad_u32 v9, v61, v28, v9
	s_wait_dscnt 0x1
	v_mad_u32 v24, v24, v31, v29
	ds_load_2addr_b32 v[28:29], v3 offset0:231 offset1:232
	v_mad_u32 v9, v25, v30, v9
	;; [unrolled: 8-line block ×10, first 2 shown]
	s_wait_loadcnt_dscnt 0x101
	v_mad_u32 v12, v12, v19, v10
	ds_load_2addr_b32 v[10:11], v3 offset0:197 offset1:198
	v_mad_u32 v9, v13, v18, v9
	s_wait_dscnt 0x1
	v_mad_u32 v12, v14, v21, v12
	s_delay_alu instid0(VALU_DEP_2) | instskip(SKIP_2) | instid1(VALU_DEP_3)
	v_mad_u32 v9, v15, v20, v9
	s_wait_loadcnt_dscnt 0x0
	v_mul_lo_u32 v11, v11, v22
	v_mad_u32 v10, v10, v23, v12
	s_delay_alu instid0(VALU_DEP_1)
	v_add3_u32 v9, v11, v9, v10
	v_mov_b32_e32 v10, 0
.LBB2_9:                                ;   Parent Loop BB2_5 Depth=1
                                        ; =>  This Inner Loop Header: Depth=2
	s_clause 0x3
	global_load_b128 v[12:15], v7, s[12:13]
	global_load_b128 v[16:19], v7, s[12:13] offset:16
	global_load_b128 v[20:23], v7, s[12:13] offset:32
	;; [unrolled: 1-line block ×3, first 2 shown]
	v_add_nc_u32_e32 v32, s9, v6
	s_sub_co_i32 s9, s9, 64
	s_wait_xcnt 0x0
	s_add_nc_u64 s[12:13], s[12:13], 64
	s_cmp_lg_u32 s9, 0xffffff00
	ds_load_2addr_b32 v[28:29], v32 offset0:14 offset1:15
	ds_load_2addr_b32 v[30:31], v32 offset0:12 offset1:13
	s_wait_loadcnt_dscnt 0x301
	v_mad_u32 v13, v28, v13, v10
	v_mad_u32 v9, v29, v12, v9
	ds_load_2addr_b32 v[10:11], v32 offset0:10 offset1:11
	s_wait_dscnt 0x1
	v_mad_u32 v15, v30, v15, v13
	v_mad_u32 v9, v31, v14, v9
	ds_load_2addr_b32 v[12:13], v32 offset0:8 offset1:9
	s_wait_loadcnt_dscnt 0x201
	v_mad_u32 v14, v10, v17, v15
	v_mad_u32 v9, v11, v16, v9
	ds_load_2addr_b32 v[10:11], v32 offset0:6 offset1:7
	s_wait_dscnt 0x1
	v_mad_u32 v14, v12, v19, v14
	v_mad_u32 v9, v13, v18, v9
	;; [unrolled: 8-line block ×3, first 2 shown]
	ds_load_2addr_b32 v[12:13], v32 offset1:1
	s_wait_loadcnt_dscnt 0x1
	v_mad_u32 v10, v10, v25, v14
	v_mad_u32 v9, v11, v24, v9
	s_wait_dscnt 0x0
	s_delay_alu instid0(VALU_DEP_2) | instskip(NEXT) | instid1(VALU_DEP_2)
	v_mad_u32 v10, v12, v27, v10
	v_mad_u32 v9, v13, v26, v9
	s_cbranch_scc1 .LBB2_9
; %bb.10:                               ;   in Loop: Header=BB2_5 Depth=1
	s_clause 0xa
	global_load_b128 v[12:15], v7, s[10:11] offset:-220
	global_load_b128 v[16:19], v7, s[10:11] offset:-204
	;; [unrolled: 1-line block ×11, first 2 shown]
	v_add_nc_u32_e32 v11, 0x3fc, v4
	global_load_b128 v[56:59], v7, s[10:11] offset:-44
	ds_load_2addr_b32 v[62:63], v4 offset0:253 offset1:254
	v_add_nc_u32_e32 v9, v9, v10
	ds_load_2addr_b32 v[60:61], v11 offset1:1
	s_wait_loadcnt_dscnt 0xb00
	v_mad_u32 v9, v61, v12, v9
	v_mul_lo_u32 v10, v60, v13
	ds_load_2addr_b32 v[60:61], v4 offset0:251 offset1:252
	v_mad_u32 v9, v63, v14, v9
	v_mad_u32 v14, v62, v15, v10
	global_load_b128 v[10:13], v7, s[10:11] offset:-28
	ds_load_2addr_b32 v[62:63], v4 offset0:249 offset1:250
	s_wait_loadcnt_dscnt 0xb01
	v_mad_u32 v9, v61, v16, v9
	v_mad_u32 v17, v60, v17, v14
	global_load_b96 v[14:16], v7, s[10:11] offset:-12
	s_wait_dscnt 0x0
	v_mad_u32 v9, v63, v18, v9
	v_mad_u32 v17, v62, v19, v17
	ds_load_2addr_b32 v[18:19], v4 offset0:247 offset1:248
	ds_load_2addr_b32 v[60:61], v4 offset0:245 offset1:246
	;; [unrolled: 1-line block ×3, first 2 shown]
	s_wait_loadcnt_dscnt 0xb02
	v_mad_u32 v17, v18, v21, v17
	v_mad_u32 v9, v19, v20, v9
	ds_load_2addr_b32 v[18:19], v4 offset0:241 offset1:242
	ds_load_2addr_b32 v[20:21], v4 offset0:239 offset1:240
	s_wait_dscnt 0x3
	v_mad_u32 v17, v60, v23, v17
	v_mad_u32 v9, v61, v22, v9
	ds_load_2addr_b32 v[22:23], v4 offset0:237 offset1:238
	s_wait_loadcnt_dscnt 0xa03
	v_mad_u32 v17, v62, v25, v17
	v_mad_u32 v9, v63, v24, v9
	s_wait_dscnt 0x2
	s_delay_alu instid0(VALU_DEP_2) | instskip(NEXT) | instid1(VALU_DEP_2)
	v_mad_u32 v17, v18, v27, v17
	v_mad_u32 v9, v19, v26, v9
	ds_load_2addr_b32 v[18:19], v4 offset0:235 offset1:236
	s_wait_loadcnt_dscnt 0x902
	v_mad_u32 v17, v20, v29, v17
	v_mad_u32 v9, v21, v28, v9
	ds_load_2addr_b32 v[20:21], v4 offset0:233 offset1:234
	s_wait_dscnt 0x2
	v_mad_u32 v17, v22, v31, v17
	v_mad_u32 v9, v23, v30, v9
	ds_load_2addr_b32 v[22:23], v4 offset0:231 offset1:232
	s_wait_loadcnt_dscnt 0x802
	v_mad_u32 v17, v18, v33, v17
	v_mad_u32 v9, v19, v32, v9
	ds_load_2addr_b32 v[18:19], v4 offset0:229 offset1:230
	s_wait_dscnt 0x2
	;; [unrolled: 8-line block ×7, first 2 shown]
	v_mad_u32 v17, v22, v55, v17
	v_mad_u32 v9, v23, v54, v9
	ds_load_2addr_b32 v[22:23], v4 offset0:207 offset1:208
	s_wait_loadcnt_dscnt 0x202
	v_mad_u32 v17, v18, v57, v17
	v_mad_u32 v9, v19, v56, v9
	ds_load_2addr_b32 v[18:19], v4 offset0:205 offset1:206
	ds_load_2addr_b32 v[24:25], v4 offset0:203 offset1:204
	s_wait_dscnt 0x3
	v_mad_u32 v17, v20, v59, v17
	v_mad_u32 v9, v21, v58, v9
	s_wait_loadcnt_dscnt 0x102
	s_delay_alu instid0(VALU_DEP_2) | instskip(NEXT) | instid1(VALU_DEP_2)
	v_mad_u32 v11, v22, v11, v17
	v_mad_u32 v9, v23, v10, v9
	s_wait_dscnt 0x1
	s_delay_alu instid0(VALU_DEP_2)
	v_mad_u32 v10, v18, v13, v11
	ds_load_b32 v11, v4 offset:808
	s_wait_loadcnt_dscnt 0x1
	v_mul_lo_u32 v13, v25, v14
	v_mad_u32 v9, v19, v12, v9
	v_mad_u32 v10, v24, v15, v10
	s_delay_alu instid0(VALU_DEP_1) | instskip(SKIP_1) | instid1(VALU_DEP_1)
	v_add3_u32 v9, v13, v9, v10
	s_wait_dscnt 0x0
	v_mad_u32 v9, v11, v16, v9
	v_lshl_add_u64 v[10:11], v[0:1], 2, s[10:11]
	global_store_b32 v[10:11], v9, off
	s_branch .LBB2_4
.LBB2_11:
	s_endpgm
	.section	.rodata,"a",@progbits
	.p2align	6, 0x0
	.amdhsa_kernel _Z10lastEntGPUPjS_ii
		.amdhsa_group_segment_fixed_size 9216
		.amdhsa_private_segment_fixed_size 0
		.amdhsa_kernarg_size 24
		.amdhsa_user_sgpr_count 2
		.amdhsa_user_sgpr_dispatch_ptr 0
		.amdhsa_user_sgpr_queue_ptr 0
		.amdhsa_user_sgpr_kernarg_segment_ptr 1
		.amdhsa_user_sgpr_dispatch_id 0
		.amdhsa_user_sgpr_kernarg_preload_length 0
		.amdhsa_user_sgpr_kernarg_preload_offset 0
		.amdhsa_user_sgpr_private_segment_size 0
		.amdhsa_wavefront_size32 1
		.amdhsa_uses_dynamic_stack 0
		.amdhsa_enable_private_segment 0
		.amdhsa_system_sgpr_workgroup_id_x 1
		.amdhsa_system_sgpr_workgroup_id_y 0
		.amdhsa_system_sgpr_workgroup_id_z 0
		.amdhsa_system_sgpr_workgroup_info 0
		.amdhsa_system_vgpr_workitem_id 0
		.amdhsa_next_free_vgpr 65
		.amdhsa_next_free_sgpr 18
		.amdhsa_named_barrier_count 0
		.amdhsa_reserve_vcc 1
		.amdhsa_float_round_mode_32 0
		.amdhsa_float_round_mode_16_64 0
		.amdhsa_float_denorm_mode_32 3
		.amdhsa_float_denorm_mode_16_64 3
		.amdhsa_fp16_overflow 0
		.amdhsa_memory_ordered 1
		.amdhsa_forward_progress 1
		.amdhsa_inst_pref_size 24
		.amdhsa_round_robin_scheduling 0
		.amdhsa_exception_fp_ieee_invalid_op 0
		.amdhsa_exception_fp_denorm_src 0
		.amdhsa_exception_fp_ieee_div_zero 0
		.amdhsa_exception_fp_ieee_overflow 0
		.amdhsa_exception_fp_ieee_underflow 0
		.amdhsa_exception_fp_ieee_inexact 0
		.amdhsa_exception_int_div_zero 0
	.end_amdhsa_kernel
	.text
.Lfunc_end2:
	.size	_Z10lastEntGPUPjS_ii, .Lfunc_end2-_Z10lastEntGPUPjS_ii
                                        ; -- End function
	.set _Z10lastEntGPUPjS_ii.num_vgpr, 65
	.set _Z10lastEntGPUPjS_ii.num_agpr, 0
	.set _Z10lastEntGPUPjS_ii.numbered_sgpr, 18
	.set _Z10lastEntGPUPjS_ii.num_named_barrier, 0
	.set _Z10lastEntGPUPjS_ii.private_seg_size, 0
	.set _Z10lastEntGPUPjS_ii.uses_vcc, 1
	.set _Z10lastEntGPUPjS_ii.uses_flat_scratch, 0
	.set _Z10lastEntGPUPjS_ii.has_dyn_sized_stack, 0
	.set _Z10lastEntGPUPjS_ii.has_recursion, 0
	.set _Z10lastEntGPUPjS_ii.has_indirect_call, 0
	.section	.AMDGPU.csdata,"",@progbits
; Kernel info:
; codeLenInByte = 3060
; TotalNumSgprs: 20
; NumVgprs: 65
; ScratchSize: 0
; MemoryBound: 0
; FloatMode: 240
; IeeeMode: 1
; LDSByteSize: 9216 bytes/workgroup (compile time only)
; SGPRBlocks: 0
; VGPRBlocks: 4
; NumSGPRsForWavesPerEU: 20
; NumVGPRsForWavesPerEU: 65
; NamedBarCnt: 0
; Occupancy: 12
; WaveLimiterHint : 0
; COMPUTE_PGM_RSRC2:SCRATCH_EN: 0
; COMPUTE_PGM_RSRC2:USER_SGPR: 2
; COMPUTE_PGM_RSRC2:TRAP_HANDLER: 0
; COMPUTE_PGM_RSRC2:TGID_X_EN: 1
; COMPUTE_PGM_RSRC2:TGID_Y_EN: 0
; COMPUTE_PGM_RSRC2:TGID_Z_EN: 0
; COMPUTE_PGM_RSRC2:TIDIG_COMP_CNT: 0
	.text
	.protected	_Z7colsGPUPjii          ; -- Begin function _Z7colsGPUPjii
	.globl	_Z7colsGPUPjii
	.p2align	8
	.type	_Z7colsGPUPjii,@function
_Z7colsGPUPjii:                         ; @_Z7colsGPUPjii
; %bb.0:
	s_load_b96 s[4:6], s[0:1], 0x8
	s_bfe_u32 s2, ttmp6, 0x4000c
	s_and_b32 s3, ttmp6, 15
	s_add_co_i32 s2, s2, 1
	s_getreg_b32 s7, hwreg(HW_REG_IB_STS2, 6, 4)
	s_mul_i32 s2, ttmp9, s2
	s_delay_alu instid0(SALU_CYCLE_1)
	s_add_co_i32 s3, s3, s2
	s_cmp_eq_u32 s7, 0
	s_cselect_b32 s7, ttmp9, s3
	s_wait_kmcnt 0x0
	s_add_co_i32 s2, s6, -1
	s_mov_b32 s6, 8
	s_cmp_eq_u32 s7, s2
	s_cselect_b32 s8, -1, 0
	s_cmp_lg_u32 s7, s2
	s_cbranch_scc1 .LBB3_2
; %bb.1:
	s_ashr_i32 s2, s5, 31
	s_delay_alu instid0(SALU_CYCLE_1) | instskip(NEXT) | instid1(SALU_CYCLE_1)
	s_lshr_b32 s2, s2, 29
	s_add_co_i32 s2, s5, s2
	s_delay_alu instid0(SALU_CYCLE_1) | instskip(NEXT) | instid1(SALU_CYCLE_1)
	s_and_b32 s2, s2, -8
	s_sub_co_i32 s2, s5, s2
	s_delay_alu instid0(SALU_CYCLE_1)
	s_cmp_lg_u32 s2, 0
	s_cselect_b32 s6, s2, 8
.LBB3_2:
	s_load_b64 s[2:3], s[0:1], 0x0
	s_wait_xcnt 0x0
	s_lshl_b32 s1, s7, 3
	s_cmp_eq_u32 s7, 0
	v_lshlrev_b32_e32 v2, 2, v0
	s_cselect_b32 s0, -1, 0
	s_delay_alu instid0(SALU_CYCLE_1) | instskip(NEXT) | instid1(VALU_DEP_1)
	v_cndmask_b32_e64 v1, 0, 1, s0
	v_cmp_le_i32_e32 vcc_lo, s6, v1
	v_readfirstlane_b32 s5, v1
	v_cmp_gt_i32_e64 s0, s6, v1
	s_cbranch_vccnz .LBB3_5
; %bb.3:
	s_add_co_i32 s9, s1, s5
	v_lshl_add_u32 v3, s5, 11, v2
	s_mul_i32 s9, s4, s9
	s_delay_alu instid0(SALU_CYCLE_1)
	v_add3_u32 v1, v0, s9, 0xffffff00
	s_mov_b32 s9, s5
.LBB3_4:                                ; =>This Inner Loop Header: Depth=1
	s_wait_kmcnt 0x0
	global_load_b32 v4, v1, s[2:3] scale_offset
	s_wait_xcnt 0x0
	v_add_nc_u32_e32 v1, s4, v1
	s_add_co_i32 s9, s9, 1
	s_delay_alu instid0(SALU_CYCLE_1)
	s_cmp_ge_i32 s9, s6
	s_wait_loadcnt 0x0
	ds_store_b32 v3, v4
	v_add_nc_u32_e32 v3, 0x800, v3
	s_cbranch_scc0 .LBB3_4
.LBB3_5:
	s_cmp_lt_i32 s4, 0x200
	s_wait_dscnt 0x0
	s_barrier_signal -1
	s_barrier_wait -1
	s_cbranch_scc1 .LBB3_26
; %bb.6:
	v_dual_lshrrev_b32 v3, 5, v0 :: v_dual_bitop2_b32 v1, 31, v0 bitop3:0x40
	s_add_co_i32 s1, s1, s5
	v_lshl_add_u32 v2, s5, 11, v2
	s_lshr_b32 s9, s4, 8
	s_delay_alu instid0(VALU_DEP_2) | instskip(SKIP_3) | instid1(VALU_DEP_3)
	v_dual_lshlrev_b32 v1, 2, v1 :: v_dual_bitop2_b32 v4, s7, v0 bitop3:0x54
	v_mad_u32 v0, s4, s1, v0
	v_cmp_gt_i32_e32 vcc_lo, s6, v3
	s_xor_b32 s7, s8, -1
	v_lshl_or_b32 v1, v3, 11, v1
	v_cmp_ne_u32_e64 s1, 0, v4
	s_mov_b32 s8, 0
	s_or_b32 s7, s7, vcc_lo
	v_add_nc_u32_e32 v3, 36, v1
	v_add_nc_u32_e32 v4, 0xa4, v1
	;; [unrolled: 1-line block ×3, first 2 shown]
	s_and_b32 s1, s1, s7
	s_add_co_i32 s7, s9, -2
	s_branch .LBB3_8
.LBB3_7:                                ;   in Loop: Header=BB3_8 Depth=1
	v_add_nc_u32_e32 v0, 0x100, v0
	s_add_co_i32 s9, s8, 1
	s_cmp_eq_u32 s8, s7
	s_mov_b32 s8, s9
	s_wait_storecnt_dscnt 0x0
	s_barrier_signal -1
	s_barrier_wait -1
	s_cbranch_scc1 .LBB3_26
.LBB3_8:                                ; =>This Loop Header: Depth=1
                                        ;     Child Loop BB3_25 Depth 2
	s_and_saveexec_b32 s9, s1
	s_cbranch_execz .LBB3_10
; %bb.9:                                ;   in Loop: Header=BB3_8 Depth=1
	ds_load_2addr_b32 v[6:7], v1 offset0:137 offset1:201
	ds_load_2addr_b32 v[8:9], v1 offset1:77
	s_wait_dscnt 0x1
	v_add_nc_u32_e32 v6, v6, v7
	s_wait_dscnt 0x0
	s_delay_alu instid0(VALU_DEP_1)
	v_add3_u32 v6, v6, v9, v8
	ds_store_b32 v1, v6 offset:1024
.LBB3_10:                               ;   in Loop: Header=BB3_8 Depth=1
	s_or_b32 exec_lo, exec_lo, s9
	s_wait_dscnt 0x0
	s_barrier_signal -1
	s_barrier_wait -1
	s_and_saveexec_b32 s9, s1
	s_cbranch_execz .LBB3_12
; %bb.11:                               ;   in Loop: Header=BB3_8 Depth=1
	ds_load_2addr_b32 v[6:7], v1 offset0:169 offset1:233
	ds_load_2addr_b32 v[8:9], v1 offset0:32 offset1:109
	s_wait_dscnt 0x1
	v_add_nc_u32_e32 v6, v6, v7
	s_wait_dscnt 0x0
	s_delay_alu instid0(VALU_DEP_1)
	v_add3_u32 v6, v6, v9, v8
	ds_store_b32 v1, v6 offset:1152
.LBB3_12:                               ;   in Loop: Header=BB3_8 Depth=1
	s_or_b32 exec_lo, exec_lo, s9
	s_wait_dscnt 0x0
	s_barrier_signal -1
	s_barrier_wait -1
	s_and_saveexec_b32 s9, s1
	s_cbranch_execz .LBB3_14
; %bb.13:                               ;   in Loop: Header=BB3_8 Depth=1
	ds_load_2addr_stride64_b32 v[6:7], v3 offset0:3 offset1:4
	ds_load_2addr_b32 v[8:9], v1 offset0:64 offset1:141
	s_wait_dscnt 0x1
	v_add_nc_u32_e32 v6, v6, v7
	s_wait_dscnt 0x0
	s_delay_alu instid0(VALU_DEP_1)
	v_add3_u32 v6, v6, v9, v8
	ds_store_b32 v1, v6 offset:1280
.LBB3_14:                               ;   in Loop: Header=BB3_8 Depth=1
	s_or_b32 exec_lo, exec_lo, s9
	s_wait_dscnt 0x0
	s_barrier_signal -1
	s_barrier_wait -1
	s_and_saveexec_b32 s9, s1
	s_cbranch_execz .LBB3_16
; %bb.15:                               ;   in Loop: Header=BB3_8 Depth=1
	ds_load_2addr_stride64_b32 v[6:7], v4 offset0:3 offset1:4
	ds_load_2addr_b32 v[8:9], v1 offset0:96 offset1:173
	s_wait_dscnt 0x1
	v_add_nc_u32_e32 v6, v6, v7
	s_wait_dscnt 0x0
	s_delay_alu instid0(VALU_DEP_1)
	v_add3_u32 v6, v6, v9, v8
	ds_store_b32 v1, v6 offset:1408
.LBB3_16:                               ;   in Loop: Header=BB3_8 Depth=1
	;; [unrolled: 16-line block ×6, first 2 shown]
	s_or_b32 exec_lo, exec_lo, s9
	v_dual_mov_b32 v6, v2 :: v_dual_mov_b32 v7, v0
	s_and_b32 vcc_lo, exec_lo, s0
	s_mov_b32 s9, s5
	s_wait_dscnt 0x0
	s_barrier_signal -1
	s_barrier_wait -1
	s_cbranch_vccz .LBB3_7
.LBB3_25:                               ;   Parent Loop BB3_8 Depth=1
                                        ; =>  This Inner Loop Header: Depth=2
	ds_load_b32 v8, v6 offset:1024
	s_add_co_i32 s9, s9, 1
	s_delay_alu instid0(SALU_CYCLE_1)
	s_cmp_ge_i32 s9, s6
	s_wait_dscnt 0x0
	ds_store_b32 v6, v8
	s_wait_kmcnt 0x0
	global_store_b32 v7, v8, s[2:3] scale_offset
	s_wait_xcnt 0x0
	v_add_nc_u32_e32 v7, s4, v7
	v_add_nc_u32_e32 v6, 0x800, v6
	s_cbranch_scc0 .LBB3_25
	s_branch .LBB3_7
.LBB3_26:
	s_endpgm
	.section	.rodata,"a",@progbits
	.p2align	6, 0x0
	.amdhsa_kernel _Z7colsGPUPjii
		.amdhsa_group_segment_fixed_size 16384
		.amdhsa_private_segment_fixed_size 0
		.amdhsa_kernarg_size 272
		.amdhsa_user_sgpr_count 2
		.amdhsa_user_sgpr_dispatch_ptr 0
		.amdhsa_user_sgpr_queue_ptr 0
		.amdhsa_user_sgpr_kernarg_segment_ptr 1
		.amdhsa_user_sgpr_dispatch_id 0
		.amdhsa_user_sgpr_kernarg_preload_length 0
		.amdhsa_user_sgpr_kernarg_preload_offset 0
		.amdhsa_user_sgpr_private_segment_size 0
		.amdhsa_wavefront_size32 1
		.amdhsa_uses_dynamic_stack 0
		.amdhsa_enable_private_segment 0
		.amdhsa_system_sgpr_workgroup_id_x 1
		.amdhsa_system_sgpr_workgroup_id_y 0
		.amdhsa_system_sgpr_workgroup_id_z 0
		.amdhsa_system_sgpr_workgroup_info 0
		.amdhsa_system_vgpr_workitem_id 0
		.amdhsa_next_free_vgpr 10
		.amdhsa_next_free_sgpr 10
		.amdhsa_named_barrier_count 0
		.amdhsa_reserve_vcc 1
		.amdhsa_float_round_mode_32 0
		.amdhsa_float_round_mode_16_64 0
		.amdhsa_float_denorm_mode_32 3
		.amdhsa_float_denorm_mode_16_64 3
		.amdhsa_fp16_overflow 0
		.amdhsa_memory_ordered 1
		.amdhsa_forward_progress 1
		.amdhsa_inst_pref_size 9
		.amdhsa_round_robin_scheduling 0
		.amdhsa_exception_fp_ieee_invalid_op 0
		.amdhsa_exception_fp_denorm_src 0
		.amdhsa_exception_fp_ieee_div_zero 0
		.amdhsa_exception_fp_ieee_overflow 0
		.amdhsa_exception_fp_ieee_underflow 0
		.amdhsa_exception_fp_ieee_inexact 0
		.amdhsa_exception_int_div_zero 0
	.end_amdhsa_kernel
	.text
.Lfunc_end3:
	.size	_Z7colsGPUPjii, .Lfunc_end3-_Z7colsGPUPjii
                                        ; -- End function
	.set _Z7colsGPUPjii.num_vgpr, 10
	.set _Z7colsGPUPjii.num_agpr, 0
	.set _Z7colsGPUPjii.numbered_sgpr, 10
	.set _Z7colsGPUPjii.num_named_barrier, 0
	.set _Z7colsGPUPjii.private_seg_size, 0
	.set _Z7colsGPUPjii.uses_vcc, 1
	.set _Z7colsGPUPjii.uses_flat_scratch, 0
	.set _Z7colsGPUPjii.has_dyn_sized_stack, 0
	.set _Z7colsGPUPjii.has_recursion, 0
	.set _Z7colsGPUPjii.has_indirect_call, 0
	.section	.AMDGPU.csdata,"",@progbits
; Kernel info:
; codeLenInByte = 1120
; TotalNumSgprs: 12
; NumVgprs: 10
; ScratchSize: 0
; MemoryBound: 0
; FloatMode: 240
; IeeeMode: 1
; LDSByteSize: 16384 bytes/workgroup (compile time only)
; SGPRBlocks: 0
; VGPRBlocks: 0
; NumSGPRsForWavesPerEU: 12
; NumVGPRsForWavesPerEU: 10
; NamedBarCnt: 0
; Occupancy: 16
; WaveLimiterHint : 0
; COMPUTE_PGM_RSRC2:SCRATCH_EN: 0
; COMPUTE_PGM_RSRC2:USER_SGPR: 2
; COMPUTE_PGM_RSRC2:TRAP_HANDLER: 0
; COMPUTE_PGM_RSRC2:TGID_X_EN: 1
; COMPUTE_PGM_RSRC2:TGID_Y_EN: 0
; COMPUTE_PGM_RSRC2:TGID_Z_EN: 0
; COMPUTE_PGM_RSRC2:TIDIG_COMP_CNT: 0
	.text
	.p2alignl 7, 3214868480
	.fill 96, 4, 3214868480
	.section	.AMDGPU.gpr_maximums,"",@progbits
	.set amdgpu.max_num_vgpr, 0
	.set amdgpu.max_num_agpr, 0
	.set amdgpu.max_num_sgpr, 0
	.text
	.type	__hip_cuid_880c3b963d45a2b6,@object ; @__hip_cuid_880c3b963d45a2b6
	.section	.bss,"aw",@nobits
	.globl	__hip_cuid_880c3b963d45a2b6
__hip_cuid_880c3b963d45a2b6:
	.byte	0                               ; 0x0
	.size	__hip_cuid_880c3b963d45a2b6, 1

	.ident	"AMD clang version 22.0.0git (https://github.com/RadeonOpenCompute/llvm-project roc-7.2.4 26084 f58b06dce1f9c15707c5f808fd002e18c2accf7e)"
	.section	".note.GNU-stack","",@progbits
	.addrsig
	.addrsig_sym __hip_cuid_880c3b963d45a2b6
	.amdgpu_metadata
---
amdhsa.kernels:
  - .args:
      - .address_space:  global
        .offset:         0
        .size:           8
        .value_kind:     global_buffer
      - .offset:         8
        .size:           4
        .value_kind:     by_value
    .group_segment_fixed_size: 2048
    .kernarg_segment_align: 8
    .kernarg_segment_size: 12
    .language:       OpenCL C
    .language_version:
      - 2
      - 0
    .max_flat_workgroup_size: 1024
    .name:           _Z11firstColGPUPji
    .private_segment_fixed_size: 0
    .sgpr_count:     5
    .sgpr_spill_count: 0
    .symbol:         _Z11firstColGPUPji.kd
    .uniform_work_group_size: 1
    .uses_dynamic_stack: false
    .vgpr_count:     10
    .vgpr_spill_count: 0
    .wavefront_size: 32
  - .args:
      - .address_space:  global
        .offset:         0
        .size:           8
        .value_kind:     global_buffer
      - .offset:         8
        .size:           4
        .value_kind:     by_value
    .group_segment_fixed_size: 3072
    .kernarg_segment_align: 8
    .kernarg_segment_size: 12
    .language:       OpenCL C
    .language_version:
      - 2
      - 0
    .max_flat_workgroup_size: 1024
    .name:           _Z7colYGPUPji
    .private_segment_fixed_size: 0
    .sgpr_count:     5
    .sgpr_spill_count: 0
    .symbol:         _Z7colYGPUPji.kd
    .uniform_work_group_size: 1
    .uses_dynamic_stack: false
    .vgpr_count:     12
    .vgpr_spill_count: 0
    .wavefront_size: 32
  - .args:
      - .address_space:  global
        .offset:         0
        .size:           8
        .value_kind:     global_buffer
      - .actual_access:  read_only
        .address_space:  global
        .offset:         8
        .size:           8
        .value_kind:     global_buffer
      - .offset:         16
        .size:           4
        .value_kind:     by_value
      - .offset:         20
        .size:           4
        .value_kind:     by_value
    .group_segment_fixed_size: 9216
    .kernarg_segment_align: 8
    .kernarg_segment_size: 24
    .language:       OpenCL C
    .language_version:
      - 2
      - 0
    .max_flat_workgroup_size: 1024
    .name:           _Z10lastEntGPUPjS_ii
    .private_segment_fixed_size: 0
    .sgpr_count:     20
    .sgpr_spill_count: 0
    .symbol:         _Z10lastEntGPUPjS_ii.kd
    .uniform_work_group_size: 1
    .uses_dynamic_stack: false
    .vgpr_count:     65
    .vgpr_spill_count: 0
    .wavefront_size: 32
  - .args:
      - .address_space:  global
        .offset:         0
        .size:           8
        .value_kind:     global_buffer
      - .offset:         8
        .size:           4
        .value_kind:     by_value
      - .offset:         12
        .size:           4
        .value_kind:     by_value
      - .offset:         16
        .size:           4
        .value_kind:     hidden_block_count_x
      - .offset:         20
        .size:           4
        .value_kind:     hidden_block_count_y
      - .offset:         24
        .size:           4
        .value_kind:     hidden_block_count_z
      - .offset:         28
        .size:           2
        .value_kind:     hidden_group_size_x
      - .offset:         30
        .size:           2
        .value_kind:     hidden_group_size_y
      - .offset:         32
        .size:           2
        .value_kind:     hidden_group_size_z
      - .offset:         34
        .size:           2
        .value_kind:     hidden_remainder_x
      - .offset:         36
        .size:           2
        .value_kind:     hidden_remainder_y
      - .offset:         38
        .size:           2
        .value_kind:     hidden_remainder_z
      - .offset:         56
        .size:           8
        .value_kind:     hidden_global_offset_x
      - .offset:         64
        .size:           8
        .value_kind:     hidden_global_offset_y
      - .offset:         72
        .size:           8
        .value_kind:     hidden_global_offset_z
      - .offset:         80
        .size:           2
        .value_kind:     hidden_grid_dims
    .group_segment_fixed_size: 16384
    .kernarg_segment_align: 8
    .kernarg_segment_size: 272
    .language:       OpenCL C
    .language_version:
      - 2
      - 0
    .max_flat_workgroup_size: 1024
    .name:           _Z7colsGPUPjii
    .private_segment_fixed_size: 0
    .sgpr_count:     12
    .sgpr_spill_count: 0
    .symbol:         _Z7colsGPUPjii.kd
    .uniform_work_group_size: 1
    .uses_dynamic_stack: false
    .vgpr_count:     10
    .vgpr_spill_count: 0
    .wavefront_size: 32
amdhsa.target:   amdgcn-amd-amdhsa--gfx1250
amdhsa.version:
  - 1
  - 2
...

	.end_amdgpu_metadata
